;; amdgpu-corpus repo=FlagOpen/FlagGems kind=triton arch=gfx950 opt=O3 lang=triton
	.amdgcn_target "amdgcn-amd-amdhsa--gfx950"
	.amdhsa_code_object_version 5
	.text
	.globl	apply_rotary_pos_emb_kernel     ; -- Begin function apply_rotary_pos_emb_kernel
	.p2align	8
	.type	apply_rotary_pos_emb_kernel,@function
apply_rotary_pos_emb_kernel:            ; @apply_rotary_pos_emb_kernel
.Lfunc_begin0:
	.cfi_sections .debug_frame
	.cfi_startproc
; %bb.7:
	.file	1 "/root/src/amdgpu-assembly/repos/FlagOpen__FlagGems/triton_aot_kernels" "rotary_embedding_aot.py"
	.loc	1 8 0 prologue_end              ; rotary_embedding_aot.py:8:0
	s_load_dwordx2 s[2:3], s[0:1], 0x0
	s_load_dwordx8 s[4:11], s[0:1], 0x8
	s_load_dwordx4 s[12:15], s[0:1], 0x28
	s_waitcnt lgkmcnt(0)
	s_branch .LBB0_0
	.loc	1 0 0 is_stmt 0                 ; :0:0
.Ltmp0:
	.p2align	8
; %bb.8:
.LBB0_0:
	s_load_dwordx8 s[20:27], s[0:1], 0x38
	s_load_dword s17, s[0:1], 0x70
	s_load_dwordx2 s[30:31], s[0:1], 0x68
.Ltmp1:
	.loc	1 52 33 is_stmt 1               ; rotary_embedding_aot.py:52:33
	v_and_b32_e32 v1, 63, v0
	s_mov_b32 s39, 0x27000
	s_waitcnt lgkmcnt(0)
	s_ashr_i32 s19, s27, 31
	s_ashr_i32 s29, s21, 31
	.loc	1 44 26                         ; rotary_embedding_aot.py:44:26
	s_mul_i32 s34, s30, s16
	.loc	1 44 19 is_stmt 0               ; rotary_embedding_aot.py:44:19
	s_ashr_i32 s35, s34, 31
	s_ashr_i32 s18, s17, 31
	;; [unrolled: 1-line block ×3, first 2 shown]
	s_lshl_b64 s[34:35], s[34:35], 3
	s_add_u32 s14, s14, s34
	s_addc_u32 s15, s15, s35
	.loc	1 45 25 is_stmt 1               ; rotary_embedding_aot.py:45:25
	s_load_dwordx2 s[14:15], s[14:15], 0x0
	s_mov_b32 s38, 0x7ffffffe
	.loc	1 64 22                         ; rotary_embedding_aot.py:64:22
	v_lshlrev_b32_e32 v2, 1, v1
	.loc	1 46 24                         ; rotary_embedding_aot.py:46:24
	s_waitcnt lgkmcnt(0)
	s_mul_i32 s28, s14, s28
	s_mul_hi_u32 s30, s14, s31
	s_add_i32 s28, s30, s28
	s_mul_i32 s30, s15, s31
	s_add_i32 s35, s28, s30
	s_mul_i32 s34, s14, s31
	.loc	1 46 15 is_stmt 0               ; rotary_embedding_aot.py:46:15
	s_lshl_b64 s[30:31], s[34:35], 1
	s_add_u32 s36, s10, s30
	s_addc_u32 s28, s11, s31
	.loc	1 47 24 is_stmt 1               ; rotary_embedding_aot.py:47:24
	s_mul_i32 s10, s14, s18
	s_mul_hi_u32 s11, s14, s17
	s_add_i32 s10, s11, s10
	s_mul_i32 s11, s15, s17
	s_add_i32 s11, s10, s11
	s_mul_i32 s10, s14, s17
	.loc	1 47 15 is_stmt 0               ; rotary_embedding_aot.py:47:15
	s_lshl_b64 s[10:11], s[10:11], 1
	s_add_u32 s12, s12, s10
	s_addc_u32 s10, s13, s11
	.loc	1 65 22 is_stmt 1               ; rotary_embedding_aot.py:65:22
	s_and_b32 s13, s10, 0xffff
	s_mov_b32 s14, s38
	s_mov_b32 s15, s39
	buffer_load_ushort v3, v2, s[12:15], 0 offen
	.loc	1 64 22                         ; rotary_embedding_aot.py:64:22
	s_and_b32 s37, s28, 0xffff
	buffer_load_ushort v2, v2, s[36:39], 0 offen
	s_load_dwordx4 s[12:15], s[0:1], 0x58
	.loc	1 68 21                         ; rotary_embedding_aot.py:68:21
	s_mul_i32 s0, s26, s16
	.loc	1 68 14 is_stmt 0               ; rotary_embedding_aot.py:68:14
	s_ashr_i32 s1, s0, 31
	s_lshl_b64 s[0:1], s[0:1], 1
	.loc	1 69 20 is_stmt 1               ; rotary_embedding_aot.py:69:20
	s_mul_i32 s10, s20, s16
	.loc	1 68 14                         ; rotary_embedding_aot.py:68:14
	s_add_u32 s2, s2, s0
	s_addc_u32 s3, s3, s1
	.loc	1 69 13                         ; rotary_embedding_aot.py:69:13
	s_ashr_i32 s11, s10, 31
	.loc	1 92 39                         ; rotary_embedding_aot.py:92:39
	v_readfirstlane_b32 s31, v0
	.loc	1 69 13                         ; rotary_embedding_aot.py:69:13
	s_lshl_b64 s[0:1], s[10:11], 1
	s_add_u32 s6, s6, s0
	.loc	1 52 33                         ; rotary_embedding_aot.py:52:33
	v_and_or_b32 v4, s31, 64, v1
	.loc	1 62 41                         ; rotary_embedding_aot.py:62:41
	v_bitop3_b32 v5, s31, 64, v1 bitop3:0x26
	.loc	1 69 13                         ; rotary_embedding_aot.py:69:13
	s_addc_u32 s7, s7, s1
	s_bitcmp0_b32 s31, 7
	s_cselect_b64 s[0:1], -1, 0
	s_mov_b32 s18, s27
	s_mov_b32 s28, s21
	v_cndmask_b32_e64 v8, 0, 1, s[0:1]
	.loc	1 66 39                         ; rotary_embedding_aot.py:66:39
	v_cmp_gt_u32_e32 vcc, 64, v5
	s_mov_b32 s17, 0
	s_mov_b32 s30, 32
	.loc	1 73 61                         ; rotary_embedding_aot.py:73:61
	v_mul_lo_u32 v6, v5, s22
	.loc	1 71 26                         ; rotary_embedding_aot.py:71:26
	s_waitcnt lgkmcnt(0)
	v_mul_lo_u32 v0, s12, v4
	v_mul_lo_u32 v7, s22, v4
	s_lshl_b64 s[10:11], s[28:29], 1
	s_lshl_b64 s[18:19], s[18:19], 1
	s_lshl_b32 s12, s27, 2
	s_lshl_b32 s20, s21, 2
	v_cmp_ne_u32_e64 s[0:1], 1, v8
	.loc	1 65 72                         ; rotary_embedding_aot.py:65:72
	s_waitcnt vmcnt(1)
	v_cvt_f32_f16_e32 v1, v3
	.loc	1 64 72                         ; rotary_embedding_aot.py:64:72
	s_waitcnt vmcnt(0)
	v_cvt_f32_f16_e32 v2, v2
	.loc	1 66 60                         ; rotary_embedding_aot.py:66:60
	v_sub_f32_e32 v3, 0, v1
	.loc	1 66 59 is_stmt 0               ; rotary_embedding_aot.py:66:59
	v_cndmask_b32_e32 v3, v3, v1, vcc
	s_branch .LBB0_2
.LBB0_1:                                ; %.critedge12
                                        ;   in Loop: Header=BB0_2 Depth=1
	.loc	1 71 26 is_stmt 1               ; rotary_embedding_aot.py:71:26
	s_add_i32 s30, s30, -4
	s_add_i32 s17, s17, s20
	s_cmp_lg_u32 s30, 0
	v_add_u32_e32 v0, s12, v0
	s_cbranch_scc0 .LBB0_4
.LBB0_2:                                ; =>This Inner Loop Header: Depth=1
	.loc	1 79 39                         ; rotary_embedding_aot.py:79:39
	s_and_b64 vcc, exec, s[0:1]
	s_cbranch_vccnz .LBB0_1
; %bb.3:                                ; %.critedge10
                                        ;   in Loop: Header=BB0_2 Depth=1
	.loc	1 78 16                         ; rotary_embedding_aot.py:78:16
	v_add_u32_e32 v8, s17, v6
	.loc	1 77 36                         ; rotary_embedding_aot.py:77:36
	v_ashrrev_i32_e32 v9, 31, v8
	v_lshl_add_u64 v[8:9], v[8:9], 1, s[6:7]
	.loc	1 77 28 is_stmt 0               ; rotary_embedding_aot.py:77:28
	global_load_ushort v1, v[8:9], off
	.loc	1 76 28 is_stmt 1               ; rotary_embedding_aot.py:76:28
	v_add_u32_e32 v10, s17, v7
	v_ashrrev_i32_e32 v11, 31, v10
	v_lshl_add_u64 v[10:11], v[10:11], 1, s[6:7]
	.loc	1 76 20 is_stmt 0               ; rotary_embedding_aot.py:76:20
	global_load_ushort v14, v[10:11], off
	.loc	1 77 36 is_stmt 1               ; rotary_embedding_aot.py:77:36
	v_lshl_add_u64 v[8:9], v[8:9], 0, s[10:11]
	.loc	1 76 28                         ; rotary_embedding_aot.py:76:28
	v_lshl_add_u64 v[10:11], v[10:11], 0, s[10:11]
	.loc	1 78 34                         ; rotary_embedding_aot.py:78:34
	s_waitcnt vmcnt(1)
	v_cvt_f32_f16_e32 v15, v1
	.loc	1 79 26                         ; rotary_embedding_aot.py:79:26
	v_ashrrev_i32_e32 v1, 31, v0
	v_lshl_add_u64 v[12:13], v[0:1], 1, s[2:3]
	.loc	1 78 34                         ; rotary_embedding_aot.py:78:34
	v_mul_f32_e32 v1, v3, v15
	.loc	1 79 39                         ; rotary_embedding_aot.py:79:39
	s_waitcnt vmcnt(0)
	v_fma_mixlo_f16 v1, v2, v14, v1 op_sel_hi:[0,1,0]
	global_store_short v[12:13], v1, off
	.loc	1 77 28                         ; rotary_embedding_aot.py:77:28
	global_load_ushort v1, v[8:9], off
	.loc	1 79 26                         ; rotary_embedding_aot.py:79:26
	v_lshl_add_u64 v[12:13], v[12:13], 0, s[18:19]
	.loc	1 76 20                         ; rotary_embedding_aot.py:76:20
	global_load_ushort v14, v[10:11], off
	.loc	1 77 36                         ; rotary_embedding_aot.py:77:36
	v_lshl_add_u64 v[8:9], v[8:9], 0, s[10:11]
	.loc	1 76 28                         ; rotary_embedding_aot.py:76:28
	v_lshl_add_u64 v[10:11], v[10:11], 0, s[10:11]
	.loc	1 78 34                         ; rotary_embedding_aot.py:78:34
	s_waitcnt vmcnt(1)
	v_cvt_f32_f16_e32 v1, v1
	v_mul_f32_e32 v1, v3, v1
	.loc	1 79 39                         ; rotary_embedding_aot.py:79:39
	s_waitcnt vmcnt(0)
	v_fma_mixlo_f16 v1, v2, v14, v1 op_sel_hi:[0,1,0]
	global_store_short v[12:13], v1, off
	.loc	1 77 28                         ; rotary_embedding_aot.py:77:28
	global_load_ushort v1, v[8:9], off
	.loc	1 79 26                         ; rotary_embedding_aot.py:79:26
	v_lshl_add_u64 v[12:13], v[12:13], 0, s[18:19]
	.loc	1 76 20                         ; rotary_embedding_aot.py:76:20
	global_load_ushort v14, v[10:11], off
	.loc	1 77 36                         ; rotary_embedding_aot.py:77:36
	v_lshl_add_u64 v[8:9], v[8:9], 0, s[10:11]
	.loc	1 78 34                         ; rotary_embedding_aot.py:78:34
	s_waitcnt vmcnt(1)
	v_cvt_f32_f16_e32 v1, v1
	v_mul_f32_e32 v1, v3, v1
	.loc	1 79 39                         ; rotary_embedding_aot.py:79:39
	s_waitcnt vmcnt(0)
	v_fma_mixlo_f16 v1, v2, v14, v1 op_sel_hi:[0,1,0]
	global_store_short v[12:13], v1, off
	.loc	1 77 28                         ; rotary_embedding_aot.py:77:28
	global_load_ushort v1, v[8:9], off
	.loc	1 76 28                         ; rotary_embedding_aot.py:76:28
	v_lshl_add_u64 v[8:9], v[10:11], 0, s[10:11]
	.loc	1 76 20 is_stmt 0               ; rotary_embedding_aot.py:76:20
	global_load_ushort v8, v[8:9], off
	.loc	1 78 34 is_stmt 1               ; rotary_embedding_aot.py:78:34
	s_waitcnt vmcnt(1)
	v_cvt_f32_f16_e32 v1, v1
	v_mul_f32_e32 v1, v3, v1
	.loc	1 79 39                         ; rotary_embedding_aot.py:79:39
	s_waitcnt vmcnt(0)
	v_fma_mixlo_f16 v1, v2, v8, v1 op_sel_hi:[0,1,0]
	.loc	1 79 26 is_stmt 0               ; rotary_embedding_aot.py:79:26
	v_lshl_add_u64 v[8:9], v[12:13], 0, s[18:19]
	.loc	1 79 39                         ; rotary_embedding_aot.py:79:39
	global_store_short v[8:9], v1, off
	s_branch .LBB0_1
.LBB0_4:
	.loc	1 92 39 is_stmt 1               ; rotary_embedding_aot.py:92:39
	s_and_b64 vcc, exec, s[0:1]
	s_cbranch_vccnz .LBB0_6
; %bb.5:                                ; %.critedge
	.loc	1 82 20                         ; rotary_embedding_aot.py:82:20
	s_mul_i32 s0, s23, s16
	.loc	1 82 13 is_stmt 0               ; rotary_embedding_aot.py:82:13
	s_ashr_i32 s1, s0, 31
	s_lshl_b64 s[0:1], s[0:1], 1
	.loc	1 86 61 is_stmt 1               ; rotary_embedding_aot.py:86:61
	v_mul_lo_u32 v0, v5, s25
	.loc	1 82 13                         ; rotary_embedding_aot.py:82:13
	s_add_u32 s0, s8, s0
	s_addc_u32 s1, s9, s1
	.loc	1 90 36                         ; rotary_embedding_aot.py:90:36
	v_ashrrev_i32_e32 v1, 31, v0
	v_lshl_add_u64 v[0:1], v[0:1], 1, s[0:1]
	.loc	1 90 28 is_stmt 0               ; rotary_embedding_aot.py:90:28
	global_load_ushort v8, v[0:1], off
	.loc	1 85 61 is_stmt 1               ; rotary_embedding_aot.py:85:61
	v_mul_lo_u32 v6, v4, s25
	.loc	1 89 28                         ; rotary_embedding_aot.py:89:28
	v_ashrrev_i32_e32 v7, 31, v6
	v_lshl_add_u64 v[6:7], v[6:7], 1, s[0:1]
	.loc	1 89 20 is_stmt 0               ; rotary_embedding_aot.py:89:20
	global_load_ushort v9, v[6:7], off
	.loc	1 81 21 is_stmt 1               ; rotary_embedding_aot.py:81:21
	s_mul_i32 s0, s13, s16
	.loc	1 81 14 is_stmt 0               ; rotary_embedding_aot.py:81:14
	s_ashr_i32 s1, s0, 31
	s_lshl_b64 s[0:1], s[0:1], 1
	.loc	1 87 61 is_stmt 1               ; rotary_embedding_aot.py:87:61
	v_mul_lo_u32 v4, v4, s15
	.loc	1 81 14                         ; rotary_embedding_aot.py:81:14
	s_add_u32 s0, s4, s0
	.loc	1 92 26                         ; rotary_embedding_aot.py:92:26
	v_ashrrev_i32_e32 v5, 31, v4
	.loc	1 81 14                         ; rotary_embedding_aot.py:81:14
	s_addc_u32 s1, s5, s1
	.loc	1 89 28                         ; rotary_embedding_aot.py:89:28
	s_ashr_i32 s25, s24, 31
	.loc	1 92 26                         ; rotary_embedding_aot.py:92:26
	v_lshl_add_u64 v[4:5], v[4:5], 1, s[0:1]
	.loc	1 89 28                         ; rotary_embedding_aot.py:89:28
	s_lshl_b64 s[0:1], s[24:25], 1
	.loc	1 90 36                         ; rotary_embedding_aot.py:90:36
	v_lshl_add_u64 v[0:1], v[0:1], 0, s[0:1]
	.loc	1 89 28                         ; rotary_embedding_aot.py:89:28
	v_lshl_add_u64 v[6:7], v[6:7], 0, s[0:1]
	.loc	1 92 26                         ; rotary_embedding_aot.py:92:26
	s_ashr_i32 s15, s14, 31
	s_lshl_b64 s[2:3], s[14:15], 1
	.loc	1 91 34                         ; rotary_embedding_aot.py:91:34
	s_waitcnt vmcnt(1)
	v_cvt_f32_f16_e32 v8, v8
	v_mul_f32_e32 v8, v3, v8
	.loc	1 92 39                         ; rotary_embedding_aot.py:92:39
	s_waitcnt vmcnt(0)
	v_fma_mixlo_f16 v8, v2, v9, v8 op_sel_hi:[0,1,0]
	global_store_short v[4:5], v8, off
	.loc	1 90 28                         ; rotary_embedding_aot.py:90:28
	global_load_ushort v8, v[0:1], off
	.loc	1 92 26                         ; rotary_embedding_aot.py:92:26
	v_lshl_add_u64 v[4:5], v[4:5], 0, s[2:3]
	.loc	1 89 20                         ; rotary_embedding_aot.py:89:20
	global_load_ushort v9, v[6:7], off
	.loc	1 90 36                         ; rotary_embedding_aot.py:90:36
	v_lshl_add_u64 v[0:1], v[0:1], 0, s[0:1]
	.loc	1 89 28                         ; rotary_embedding_aot.py:89:28
	v_lshl_add_u64 v[6:7], v[6:7], 0, s[0:1]
	.loc	1 91 34                         ; rotary_embedding_aot.py:91:34
	s_waitcnt vmcnt(1)
	v_cvt_f32_f16_e32 v8, v8
	v_mul_f32_e32 v8, v3, v8
	.loc	1 92 39                         ; rotary_embedding_aot.py:92:39
	s_waitcnt vmcnt(0)
	v_fma_mixlo_f16 v8, v2, v9, v8 op_sel_hi:[0,1,0]
	global_store_short v[4:5], v8, off
	.loc	1 90 28                         ; rotary_embedding_aot.py:90:28
	global_load_ushort v8, v[0:1], off
	.loc	1 92 26                         ; rotary_embedding_aot.py:92:26
	v_lshl_add_u64 v[4:5], v[4:5], 0, s[2:3]
	.loc	1 89 20                         ; rotary_embedding_aot.py:89:20
	global_load_ushort v9, v[6:7], off
	.loc	1 90 36                         ; rotary_embedding_aot.py:90:36
	v_lshl_add_u64 v[0:1], v[0:1], 0, s[0:1]
	.loc	1 89 28                         ; rotary_embedding_aot.py:89:28
	v_lshl_add_u64 v[6:7], v[6:7], 0, s[0:1]
	;; [unrolled: 18-line block ×5, first 2 shown]
	.loc	1 91 34                         ; rotary_embedding_aot.py:91:34
	s_waitcnt vmcnt(1)
	v_cvt_f32_f16_e32 v8, v8
	v_mul_f32_e32 v8, v3, v8
	.loc	1 92 39                         ; rotary_embedding_aot.py:92:39
	s_waitcnt vmcnt(0)
	v_fma_mixlo_f16 v8, v2, v9, v8 op_sel_hi:[0,1,0]
	global_store_short v[4:5], v8, off
	.loc	1 90 28                         ; rotary_embedding_aot.py:90:28
	global_load_ushort v8, v[0:1], off
	.loc	1 92 26                         ; rotary_embedding_aot.py:92:26
	v_lshl_add_u64 v[4:5], v[4:5], 0, s[2:3]
	.loc	1 89 20                         ; rotary_embedding_aot.py:89:20
	global_load_ushort v9, v[6:7], off
	.loc	1 90 36                         ; rotary_embedding_aot.py:90:36
	v_lshl_add_u64 v[0:1], v[0:1], 0, s[0:1]
	.loc	1 91 34                         ; rotary_embedding_aot.py:91:34
	s_waitcnt vmcnt(1)
	v_cvt_f32_f16_e32 v8, v8
	v_mul_f32_e32 v8, v3, v8
	.loc	1 92 39                         ; rotary_embedding_aot.py:92:39
	s_waitcnt vmcnt(0)
	v_fma_mixlo_f16 v8, v2, v9, v8 op_sel_hi:[0,1,0]
	global_store_short v[4:5], v8, off
	.loc	1 90 28                         ; rotary_embedding_aot.py:90:28
	global_load_ushort v8, v[0:1], off
	.loc	1 89 28                         ; rotary_embedding_aot.py:89:28
	v_lshl_add_u64 v[0:1], v[6:7], 0, s[0:1]
	.loc	1 89 20 is_stmt 0               ; rotary_embedding_aot.py:89:20
	global_load_ushort v0, v[0:1], off
	.loc	1 91 34 is_stmt 1               ; rotary_embedding_aot.py:91:34
	s_waitcnt vmcnt(1)
	v_cvt_f32_f16_e32 v1, v8
	v_mul_f32_e32 v1, v3, v1
	.loc	1 92 39                         ; rotary_embedding_aot.py:92:39
	s_waitcnt vmcnt(0)
	v_fma_mixlo_f16 v2, v2, v0, v1 op_sel_hi:[0,1,0]
	.loc	1 92 26 is_stmt 0               ; rotary_embedding_aot.py:92:26
	v_lshl_add_u64 v[0:1], v[4:5], 0, s[2:3]
	.loc	1 92 39                         ; rotary_embedding_aot.py:92:39
	global_store_short v[0:1], v2, off
.LBB0_6:                                ; %.critedge8
	.loc	1 84 4 is_stmt 1                ; rotary_embedding_aot.py:84:4
	s_endpgm
.Ltmp2:
	.section	.rodata,"a",@progbits
	.p2align	6, 0x0
	.amdhsa_kernel apply_rotary_pos_emb_kernel
		.amdhsa_group_segment_fixed_size 0
		.amdhsa_private_segment_fixed_size 0
		.amdhsa_kernarg_size 136
		.amdhsa_user_sgpr_count 16
		.amdhsa_user_sgpr_dispatch_ptr 0
		.amdhsa_user_sgpr_queue_ptr 0
		.amdhsa_user_sgpr_kernarg_segment_ptr 1
		.amdhsa_user_sgpr_dispatch_id 0
		.amdhsa_user_sgpr_kernarg_preload_length 14
		.amdhsa_user_sgpr_kernarg_preload_offset 0
		.amdhsa_user_sgpr_private_segment_size 0
		.amdhsa_uses_dynamic_stack 0
		.amdhsa_enable_private_segment 0
		.amdhsa_system_sgpr_workgroup_id_x 1
		.amdhsa_system_sgpr_workgroup_id_y 0
		.amdhsa_system_sgpr_workgroup_id_z 0
		.amdhsa_system_sgpr_workgroup_info 0
		.amdhsa_system_vgpr_workitem_id 0
		.amdhsa_next_free_vgpr 16
		.amdhsa_next_free_sgpr 40
		.amdhsa_accum_offset 16
		.amdhsa_reserve_vcc 1
		.amdhsa_reserve_xnack_mask 1
		.amdhsa_float_round_mode_32 0
		.amdhsa_float_round_mode_16_64 0
		.amdhsa_float_denorm_mode_32 3
		.amdhsa_float_denorm_mode_16_64 3
		.amdhsa_dx10_clamp 1
		.amdhsa_ieee_mode 1
		.amdhsa_fp16_overflow 0
		.amdhsa_tg_split 0
		.amdhsa_exception_fp_ieee_invalid_op 0
		.amdhsa_exception_fp_denorm_src 0
		.amdhsa_exception_fp_ieee_div_zero 0
		.amdhsa_exception_fp_ieee_overflow 0
		.amdhsa_exception_fp_ieee_underflow 0
		.amdhsa_exception_fp_ieee_inexact 0
		.amdhsa_exception_int_div_zero 0
	.end_amdhsa_kernel
	.text
.Lfunc_end0:
	.size	apply_rotary_pos_emb_kernel, .Lfunc_end0-apply_rotary_pos_emb_kernel
	.cfi_endproc
                                        ; -- End function
	.set apply_rotary_pos_emb_kernel.num_vgpr, 16
	.set apply_rotary_pos_emb_kernel.num_agpr, 0
	.set apply_rotary_pos_emb_kernel.numbered_sgpr, 40
	.set apply_rotary_pos_emb_kernel.num_named_barrier, 0
	.set apply_rotary_pos_emb_kernel.private_seg_size, 0
	.set apply_rotary_pos_emb_kernel.uses_vcc, 1
	.set apply_rotary_pos_emb_kernel.uses_flat_scratch, 0
	.set apply_rotary_pos_emb_kernel.has_dyn_sized_stack, 0
	.set apply_rotary_pos_emb_kernel.has_recursion, 0
	.set apply_rotary_pos_emb_kernel.has_indirect_call, 0
	.section	.AMDGPU.csdata,"",@progbits
; Kernel info:
; codeLenInByte = 1672
; TotalNumSgprs: 46
; NumVgprs: 16
; NumAgprs: 0
; TotalNumVgprs: 16
; ScratchSize: 0
; MemoryBound: 0
; FloatMode: 240
; IeeeMode: 1
; LDSByteSize: 0 bytes/workgroup (compile time only)
; SGPRBlocks: 5
; VGPRBlocks: 1
; NumSGPRsForWavesPerEU: 46
; NumVGPRsForWavesPerEU: 16
; AccumOffset: 16
; Occupancy: 8
; WaveLimiterHint : 0
; COMPUTE_PGM_RSRC2:SCRATCH_EN: 0
; COMPUTE_PGM_RSRC2:USER_SGPR: 16
; COMPUTE_PGM_RSRC2:TRAP_HANDLER: 0
; COMPUTE_PGM_RSRC2:TGID_X_EN: 1
; COMPUTE_PGM_RSRC2:TGID_Y_EN: 0
; COMPUTE_PGM_RSRC2:TGID_Z_EN: 0
; COMPUTE_PGM_RSRC2:TIDIG_COMP_CNT: 0
; COMPUTE_PGM_RSRC3_GFX90A:ACCUM_OFFSET: 3
; COMPUTE_PGM_RSRC3_GFX90A:TG_SPLIT: 0
	.text
	.p2alignl 6, 3212836864
	.fill 256, 4, 3212836864
	.section	.AMDGPU.gpr_maximums,"",@progbits
	.set amdgpu.max_num_vgpr, 0
	.set amdgpu.max_num_agpr, 0
	.set amdgpu.max_num_sgpr, 0
	.set amdgpu.max_num_named_barrier, 0
	.text
	.section	.debug_abbrev,"",@progbits
	.byte	1                               ; Abbreviation Code
	.byte	17                              ; DW_TAG_compile_unit
	.byte	0                               ; DW_CHILDREN_no
	.byte	37                              ; DW_AT_producer
	.byte	14                              ; DW_FORM_strp
	.byte	19                              ; DW_AT_language
	.byte	5                               ; DW_FORM_data2
	.byte	3                               ; DW_AT_name
	.byte	14                              ; DW_FORM_strp
	.byte	16                              ; DW_AT_stmt_list
	.byte	23                              ; DW_FORM_sec_offset
	.byte	27                              ; DW_AT_comp_dir
	.byte	14                              ; DW_FORM_strp
	.byte	17                              ; DW_AT_low_pc
	.byte	1                               ; DW_FORM_addr
	.byte	18                              ; DW_AT_high_pc
	.byte	6                               ; DW_FORM_data4
	.byte	0                               ; EOM(1)
	.byte	0                               ; EOM(2)
	.byte	0                               ; EOM(3)
	.section	.debug_info,"",@progbits
.Lcu_begin0:
	.long	.Ldebug_info_end0-.Ldebug_info_start0 ; Length of Unit
.Ldebug_info_start0:
	.short	4                               ; DWARF version number
	.long	.debug_abbrev                   ; Offset Into Abbrev. Section
	.byte	8                               ; Address Size (in bytes)
	.byte	1                               ; Abbrev [1] 0xb:0x1f DW_TAG_compile_unit
	.long	.Linfo_string0                  ; DW_AT_producer
	.short	2                               ; DW_AT_language
	.long	.Linfo_string1                  ; DW_AT_name
	.long	.Lline_table_start0             ; DW_AT_stmt_list
	.long	.Linfo_string2                  ; DW_AT_comp_dir
	.quad	.Lfunc_begin0                   ; DW_AT_low_pc
	.long	.Lfunc_end0-.Lfunc_begin0       ; DW_AT_high_pc
.Ldebug_info_end0:
	.section	.debug_str,"MS",@progbits,1
.Linfo_string0:
	.asciz	"triton"                        ; string offset=0
.Linfo_string1:
	.asciz	"rotary_embedding_aot.py"       ; string offset=7
.Linfo_string2:
	.asciz	"/root/src/amdgpu-assembly/repos/FlagOpen__FlagGems/triton_aot_kernels" ; string offset=31
	.section	".note.GNU-stack","",@progbits
	.amdgpu_metadata
---
amdhsa.kernels:
  - .agpr_count:     0
    .args:
      - .address_space:  global
        .offset:         0
        .size:           8
        .value_kind:     global_buffer
      - .address_space:  global
        .offset:         8
        .size:           8
        .value_kind:     global_buffer
      - .address_space:  global
        .offset:         16
        .size:           8
        .value_kind:     global_buffer
      - .address_space:  global
        .offset:         24
        .size:           8
        .value_kind:     global_buffer
      - .address_space:  global
        .offset:         32
        .size:           8
        .value_kind:     global_buffer
      - .address_space:  global
        .offset:         40
        .size:           8
        .value_kind:     global_buffer
      - .address_space:  global
        .offset:         48
        .size:           8
        .value_kind:     global_buffer
      - .offset:         56
        .size:           4
        .value_kind:     by_value
      - .offset:         60
        .size:           4
        .value_kind:     by_value
      - .offset:         64
        .size:           4
        .value_kind:     by_value
      - .offset:         68
        .size:           4
        .value_kind:     by_value
      - .offset:         72
        .size:           4
        .value_kind:     by_value
      - .offset:         76
        .size:           4
        .value_kind:     by_value
      - .offset:         80
        .size:           4
        .value_kind:     by_value
      - .offset:         84
        .size:           4
        .value_kind:     by_value
      - .offset:         88
        .size:           4
        .value_kind:     by_value
      - .offset:         92
        .size:           4
        .value_kind:     by_value
      - .offset:         96
        .size:           4
        .value_kind:     by_value
      - .offset:         100
        .size:           4
        .value_kind:     by_value
      - .offset:         104
        .size:           4
        .value_kind:     by_value
      - .offset:         108
        .size:           4
        .value_kind:     by_value
      - .offset:         112
        .size:           4
        .value_kind:     by_value
      - .offset:         116
        .size:           4
        .value_kind:     by_value
      - .address_space:  global
        .offset:         120
        .size:           8
        .value_kind:     global_buffer
      - .address_space:  global
        .offset:         128
        .size:           8
        .value_kind:     global_buffer
    .group_segment_fixed_size: 0
    .kernarg_segment_align: 8
    .kernarg_segment_size: 136
    .max_flat_workgroup_size: 256
    .name:           apply_rotary_pos_emb_kernel
    .private_segment_fixed_size: 0
    .sgpr_count:     46
    .sgpr_spill_count: 0
    .symbol:         apply_rotary_pos_emb_kernel.kd
    .uniform_work_group_size: 1
    .uses_dynamic_stack: false
    .vgpr_count:     16
    .vgpr_spill_count: 0
    .wavefront_size: 64
amdhsa.target:   amdgcn-amd-amdhsa--gfx950
amdhsa.version:
  - 1
  - 2
...

	.end_amdgpu_metadata
	.section	.debug_line,"",@progbits
.Lline_table_start0:
